;; amdgpu-corpus repo=ROCm/rocFFT kind=compiled arch=gfx1100 opt=O3
	.text
	.amdgcn_target "amdgcn-amd-amdhsa--gfx1100"
	.amdhsa_code_object_version 6
	.protected	fft_rtc_fwd_len224_factors_7_2_2_2_2_2_wgs_64_tpt_16_halfLds_half_op_CI_CI_unitstride_sbrr_dirReg ; -- Begin function fft_rtc_fwd_len224_factors_7_2_2_2_2_2_wgs_64_tpt_16_halfLds_half_op_CI_CI_unitstride_sbrr_dirReg
	.globl	fft_rtc_fwd_len224_factors_7_2_2_2_2_2_wgs_64_tpt_16_halfLds_half_op_CI_CI_unitstride_sbrr_dirReg
	.p2align	8
	.type	fft_rtc_fwd_len224_factors_7_2_2_2_2_2_wgs_64_tpt_16_halfLds_half_op_CI_CI_unitstride_sbrr_dirReg,@function
fft_rtc_fwd_len224_factors_7_2_2_2_2_2_wgs_64_tpt_16_halfLds_half_op_CI_CI_unitstride_sbrr_dirReg: ; @fft_rtc_fwd_len224_factors_7_2_2_2_2_2_wgs_64_tpt_16_halfLds_half_op_CI_CI_unitstride_sbrr_dirReg
; %bb.0:
	s_clause 0x2
	s_load_b128 s[8:11], s[0:1], 0x0
	s_load_b128 s[4:7], s[0:1], 0x58
	;; [unrolled: 1-line block ×3, first 2 shown]
	v_lshrrev_b32_e32 v10, 4, v0
	v_dual_mov_b32 v3, 0 :: v_dual_mov_b32 v18, 0
	v_mov_b32_e32 v19, 0
	s_delay_alu instid0(VALU_DEP_3) | instskip(NEXT) | instid1(VALU_DEP_3)
	v_lshl_or_b32 v7, s15, 2, v10
	v_mov_b32_e32 v8, v3
	s_waitcnt lgkmcnt(0)
	v_cmp_lt_u64_e64 s2, s[10:11], 2
	s_delay_alu instid0(VALU_DEP_1)
	s_and_b32 vcc_lo, exec_lo, s2
	s_cbranch_vccnz .LBB0_8
; %bb.1:
	s_load_b64 s[2:3], s[0:1], 0x10
	v_mov_b32_e32 v18, 0
	v_mov_b32_e32 v19, 0
	s_add_u32 s12, s18, 8
	s_addc_u32 s13, s19, 0
	s_add_u32 s14, s16, 8
	s_delay_alu instid0(VALU_DEP_1)
	v_dual_mov_b32 v1, v18 :: v_dual_mov_b32 v2, v19
	s_addc_u32 s15, s17, 0
	s_mov_b64 s[22:23], 1
	s_waitcnt lgkmcnt(0)
	s_add_u32 s20, s2, 8
	s_addc_u32 s21, s3, 0
.LBB0_2:                                ; =>This Inner Loop Header: Depth=1
	s_load_b64 s[24:25], s[20:21], 0x0
                                        ; implicit-def: $vgpr5_vgpr6
	s_mov_b32 s2, exec_lo
	s_waitcnt lgkmcnt(0)
	v_or_b32_e32 v4, s25, v8
	s_delay_alu instid0(VALU_DEP_1)
	v_cmpx_ne_u64_e32 0, v[3:4]
	s_xor_b32 s3, exec_lo, s2
	s_cbranch_execz .LBB0_4
; %bb.3:                                ;   in Loop: Header=BB0_2 Depth=1
	v_cvt_f32_u32_e32 v4, s24
	v_cvt_f32_u32_e32 v5, s25
	s_sub_u32 s2, 0, s24
	s_subb_u32 s26, 0, s25
	s_delay_alu instid0(VALU_DEP_1) | instskip(NEXT) | instid1(VALU_DEP_1)
	v_fmac_f32_e32 v4, 0x4f800000, v5
	v_rcp_f32_e32 v4, v4
	s_waitcnt_depctr 0xfff
	v_mul_f32_e32 v4, 0x5f7ffffc, v4
	s_delay_alu instid0(VALU_DEP_1) | instskip(NEXT) | instid1(VALU_DEP_1)
	v_mul_f32_e32 v5, 0x2f800000, v4
	v_trunc_f32_e32 v5, v5
	s_delay_alu instid0(VALU_DEP_1) | instskip(SKIP_1) | instid1(VALU_DEP_2)
	v_fmac_f32_e32 v4, 0xcf800000, v5
	v_cvt_u32_f32_e32 v5, v5
	v_cvt_u32_f32_e32 v4, v4
	s_delay_alu instid0(VALU_DEP_2) | instskip(NEXT) | instid1(VALU_DEP_2)
	v_mul_lo_u32 v6, s2, v5
	v_mul_hi_u32 v9, s2, v4
	v_mul_lo_u32 v11, s26, v4
	s_delay_alu instid0(VALU_DEP_2) | instskip(SKIP_1) | instid1(VALU_DEP_2)
	v_add_nc_u32_e32 v6, v9, v6
	v_mul_lo_u32 v9, s2, v4
	v_add_nc_u32_e32 v6, v6, v11
	s_delay_alu instid0(VALU_DEP_2) | instskip(NEXT) | instid1(VALU_DEP_2)
	v_mul_hi_u32 v11, v4, v9
	v_mul_lo_u32 v12, v4, v6
	v_mul_hi_u32 v13, v4, v6
	v_mul_hi_u32 v14, v5, v9
	v_mul_lo_u32 v9, v5, v9
	v_mul_hi_u32 v15, v5, v6
	v_mul_lo_u32 v6, v5, v6
	v_add_co_u32 v11, vcc_lo, v11, v12
	v_add_co_ci_u32_e32 v12, vcc_lo, 0, v13, vcc_lo
	s_delay_alu instid0(VALU_DEP_2) | instskip(NEXT) | instid1(VALU_DEP_2)
	v_add_co_u32 v9, vcc_lo, v11, v9
	v_add_co_ci_u32_e32 v9, vcc_lo, v12, v14, vcc_lo
	v_add_co_ci_u32_e32 v11, vcc_lo, 0, v15, vcc_lo
	s_delay_alu instid0(VALU_DEP_2) | instskip(NEXT) | instid1(VALU_DEP_2)
	v_add_co_u32 v6, vcc_lo, v9, v6
	v_add_co_ci_u32_e32 v9, vcc_lo, 0, v11, vcc_lo
	s_delay_alu instid0(VALU_DEP_2) | instskip(NEXT) | instid1(VALU_DEP_2)
	v_add_co_u32 v4, vcc_lo, v4, v6
	v_add_co_ci_u32_e32 v5, vcc_lo, v5, v9, vcc_lo
	s_delay_alu instid0(VALU_DEP_2) | instskip(SKIP_1) | instid1(VALU_DEP_3)
	v_mul_hi_u32 v6, s2, v4
	v_mul_lo_u32 v11, s26, v4
	v_mul_lo_u32 v9, s2, v5
	s_delay_alu instid0(VALU_DEP_1) | instskip(SKIP_1) | instid1(VALU_DEP_2)
	v_add_nc_u32_e32 v6, v6, v9
	v_mul_lo_u32 v9, s2, v4
	v_add_nc_u32_e32 v6, v6, v11
	s_delay_alu instid0(VALU_DEP_2) | instskip(NEXT) | instid1(VALU_DEP_2)
	v_mul_hi_u32 v11, v4, v9
	v_mul_lo_u32 v12, v4, v6
	v_mul_hi_u32 v13, v4, v6
	v_mul_hi_u32 v14, v5, v9
	v_mul_lo_u32 v9, v5, v9
	v_mul_hi_u32 v15, v5, v6
	v_mul_lo_u32 v6, v5, v6
	v_add_co_u32 v11, vcc_lo, v11, v12
	v_add_co_ci_u32_e32 v12, vcc_lo, 0, v13, vcc_lo
	s_delay_alu instid0(VALU_DEP_2) | instskip(NEXT) | instid1(VALU_DEP_2)
	v_add_co_u32 v9, vcc_lo, v11, v9
	v_add_co_ci_u32_e32 v9, vcc_lo, v12, v14, vcc_lo
	v_add_co_ci_u32_e32 v11, vcc_lo, 0, v15, vcc_lo
	s_delay_alu instid0(VALU_DEP_2) | instskip(NEXT) | instid1(VALU_DEP_2)
	v_add_co_u32 v6, vcc_lo, v9, v6
	v_add_co_ci_u32_e32 v9, vcc_lo, 0, v11, vcc_lo
	s_delay_alu instid0(VALU_DEP_2) | instskip(NEXT) | instid1(VALU_DEP_2)
	v_add_co_u32 v6, vcc_lo, v4, v6
	v_add_co_ci_u32_e32 v9, vcc_lo, v5, v9, vcc_lo
	s_delay_alu instid0(VALU_DEP_2) | instskip(SKIP_1) | instid1(VALU_DEP_3)
	v_mul_hi_u32 v15, v7, v6
	v_mad_u64_u32 v[11:12], null, v8, v6, 0
	v_mad_u64_u32 v[4:5], null, v7, v9, 0
	;; [unrolled: 1-line block ×3, first 2 shown]
	s_delay_alu instid0(VALU_DEP_2) | instskip(NEXT) | instid1(VALU_DEP_3)
	v_add_co_u32 v4, vcc_lo, v15, v4
	v_add_co_ci_u32_e32 v5, vcc_lo, 0, v5, vcc_lo
	s_delay_alu instid0(VALU_DEP_2) | instskip(NEXT) | instid1(VALU_DEP_2)
	v_add_co_u32 v4, vcc_lo, v4, v11
	v_add_co_ci_u32_e32 v4, vcc_lo, v5, v12, vcc_lo
	v_add_co_ci_u32_e32 v5, vcc_lo, 0, v14, vcc_lo
	s_delay_alu instid0(VALU_DEP_2) | instskip(NEXT) | instid1(VALU_DEP_2)
	v_add_co_u32 v9, vcc_lo, v4, v13
	v_add_co_ci_u32_e32 v6, vcc_lo, 0, v5, vcc_lo
	s_delay_alu instid0(VALU_DEP_2) | instskip(SKIP_1) | instid1(VALU_DEP_3)
	v_mul_lo_u32 v11, s25, v9
	v_mad_u64_u32 v[4:5], null, s24, v9, 0
	v_mul_lo_u32 v12, s24, v6
	s_delay_alu instid0(VALU_DEP_2) | instskip(NEXT) | instid1(VALU_DEP_2)
	v_sub_co_u32 v4, vcc_lo, v7, v4
	v_add3_u32 v5, v5, v12, v11
	s_delay_alu instid0(VALU_DEP_1) | instskip(NEXT) | instid1(VALU_DEP_1)
	v_sub_nc_u32_e32 v11, v8, v5
	v_subrev_co_ci_u32_e64 v11, s2, s25, v11, vcc_lo
	v_add_co_u32 v12, s2, v9, 2
	s_delay_alu instid0(VALU_DEP_1) | instskip(SKIP_3) | instid1(VALU_DEP_3)
	v_add_co_ci_u32_e64 v13, s2, 0, v6, s2
	v_sub_co_u32 v14, s2, v4, s24
	v_sub_co_ci_u32_e32 v5, vcc_lo, v8, v5, vcc_lo
	v_subrev_co_ci_u32_e64 v11, s2, 0, v11, s2
	v_cmp_le_u32_e32 vcc_lo, s24, v14
	s_delay_alu instid0(VALU_DEP_3) | instskip(SKIP_1) | instid1(VALU_DEP_4)
	v_cmp_eq_u32_e64 s2, s25, v5
	v_cndmask_b32_e64 v14, 0, -1, vcc_lo
	v_cmp_le_u32_e32 vcc_lo, s25, v11
	v_cndmask_b32_e64 v15, 0, -1, vcc_lo
	v_cmp_le_u32_e32 vcc_lo, s24, v4
	;; [unrolled: 2-line block ×3, first 2 shown]
	v_cndmask_b32_e64 v16, 0, -1, vcc_lo
	v_cmp_eq_u32_e32 vcc_lo, s25, v11
	s_delay_alu instid0(VALU_DEP_2) | instskip(SKIP_3) | instid1(VALU_DEP_3)
	v_cndmask_b32_e64 v4, v16, v4, s2
	v_cndmask_b32_e32 v11, v15, v14, vcc_lo
	v_add_co_u32 v14, vcc_lo, v9, 1
	v_add_co_ci_u32_e32 v15, vcc_lo, 0, v6, vcc_lo
	v_cmp_ne_u32_e32 vcc_lo, 0, v11
	s_delay_alu instid0(VALU_DEP_2) | instskip(NEXT) | instid1(VALU_DEP_4)
	v_cndmask_b32_e32 v5, v15, v13, vcc_lo
	v_cndmask_b32_e32 v11, v14, v12, vcc_lo
	v_cmp_ne_u32_e32 vcc_lo, 0, v4
	s_delay_alu instid0(VALU_DEP_2)
	v_dual_cndmask_b32 v6, v6, v5 :: v_dual_cndmask_b32 v5, v9, v11
.LBB0_4:                                ;   in Loop: Header=BB0_2 Depth=1
	s_and_not1_saveexec_b32 s2, s3
	s_cbranch_execz .LBB0_6
; %bb.5:                                ;   in Loop: Header=BB0_2 Depth=1
	v_cvt_f32_u32_e32 v4, s24
	s_sub_i32 s3, 0, s24
	s_delay_alu instid0(VALU_DEP_1) | instskip(SKIP_2) | instid1(VALU_DEP_1)
	v_rcp_iflag_f32_e32 v4, v4
	s_waitcnt_depctr 0xfff
	v_mul_f32_e32 v4, 0x4f7ffffe, v4
	v_cvt_u32_f32_e32 v4, v4
	s_delay_alu instid0(VALU_DEP_1) | instskip(NEXT) | instid1(VALU_DEP_1)
	v_mul_lo_u32 v5, s3, v4
	v_mul_hi_u32 v5, v4, v5
	s_delay_alu instid0(VALU_DEP_1) | instskip(NEXT) | instid1(VALU_DEP_1)
	v_add_nc_u32_e32 v4, v4, v5
	v_mul_hi_u32 v4, v7, v4
	s_delay_alu instid0(VALU_DEP_1) | instskip(SKIP_1) | instid1(VALU_DEP_2)
	v_mul_lo_u32 v5, v4, s24
	v_add_nc_u32_e32 v6, 1, v4
	v_sub_nc_u32_e32 v5, v7, v5
	s_delay_alu instid0(VALU_DEP_1) | instskip(SKIP_1) | instid1(VALU_DEP_2)
	v_subrev_nc_u32_e32 v9, s24, v5
	v_cmp_le_u32_e32 vcc_lo, s24, v5
	v_dual_cndmask_b32 v5, v5, v9 :: v_dual_cndmask_b32 v4, v4, v6
	s_delay_alu instid0(VALU_DEP_1) | instskip(NEXT) | instid1(VALU_DEP_2)
	v_cmp_le_u32_e32 vcc_lo, s24, v5
	v_add_nc_u32_e32 v6, 1, v4
	s_delay_alu instid0(VALU_DEP_1)
	v_dual_cndmask_b32 v5, v4, v6 :: v_dual_mov_b32 v6, v3
.LBB0_6:                                ;   in Loop: Header=BB0_2 Depth=1
	s_or_b32 exec_lo, exec_lo, s2
	s_delay_alu instid0(VALU_DEP_1) | instskip(NEXT) | instid1(VALU_DEP_2)
	v_mul_lo_u32 v4, v6, s24
	v_mul_lo_u32 v9, v5, s25
	s_load_b64 s[2:3], s[14:15], 0x0
	v_mad_u64_u32 v[11:12], null, v5, s24, 0
	s_load_b64 s[24:25], s[12:13], 0x0
	s_add_u32 s22, s22, 1
	s_addc_u32 s23, s23, 0
	s_add_u32 s12, s12, 8
	s_addc_u32 s13, s13, 0
	s_add_u32 s14, s14, 8
	s_delay_alu instid0(VALU_DEP_1) | instskip(SKIP_3) | instid1(VALU_DEP_2)
	v_add3_u32 v4, v12, v9, v4
	v_sub_co_u32 v9, vcc_lo, v7, v11
	s_addc_u32 s15, s15, 0
	s_add_u32 s20, s20, 8
	v_sub_co_ci_u32_e32 v4, vcc_lo, v8, v4, vcc_lo
	s_addc_u32 s21, s21, 0
	s_waitcnt lgkmcnt(0)
	s_delay_alu instid0(VALU_DEP_1)
	v_mul_lo_u32 v13, s2, v4
	v_mul_lo_u32 v14, s3, v9
	v_mad_u64_u32 v[7:8], null, s2, v9, v[18:19]
	v_mul_lo_u32 v4, s24, v4
	v_mul_lo_u32 v15, s25, v9
	v_mad_u64_u32 v[11:12], null, s24, v9, v[1:2]
	v_cmp_ge_u64_e64 s2, s[22:23], s[10:11]
	v_add3_u32 v19, v14, v8, v13
	v_mov_b32_e32 v18, v7
	s_delay_alu instid0(VALU_DEP_4)
	v_add3_u32 v2, v15, v12, v4
	v_mov_b32_e32 v1, v11
	s_and_b32 vcc_lo, exec_lo, s2
	s_cbranch_vccnz .LBB0_9
; %bb.7:                                ;   in Loop: Header=BB0_2 Depth=1
	v_dual_mov_b32 v8, v6 :: v_dual_mov_b32 v7, v5
	s_branch .LBB0_2
.LBB0_8:
	v_dual_mov_b32 v1, v18 :: v_dual_mov_b32 v2, v19
	v_dual_mov_b32 v5, v7 :: v_dual_mov_b32 v6, v8
.LBB0_9:
	s_load_b64 s[0:1], s[0:1], 0x28
	s_lshl_b64 s[10:11], s[10:11], 3
	v_and_b32_e32 v3, 15, v0
	s_add_u32 s2, s18, s10
	s_addc_u32 s3, s19, s11
                                        ; implicit-def: $sgpr12
                                        ; implicit-def: $vgpr16
                                        ; implicit-def: $vgpr14
                                        ; implicit-def: $vgpr7
                                        ; implicit-def: $vgpr9
                                        ; implicit-def: $vgpr11
                                        ; implicit-def: $vgpr13
	s_waitcnt lgkmcnt(0)
	v_cmp_gt_u64_e32 vcc_lo, s[0:1], v[5:6]
	v_cmp_le_u64_e64 s0, s[0:1], v[5:6]
	s_delay_alu instid0(VALU_DEP_1) | instskip(NEXT) | instid1(SALU_CYCLE_1)
	s_and_saveexec_b32 s1, s0
	s_xor_b32 s0, exec_lo, s1
; %bb.10:
	v_dual_mov_b32 v4, 0 :: v_dual_and_b32 v3, 15, v0
	s_mov_b32 s12, 0
                                        ; implicit-def: $vgpr18_vgpr19
	s_delay_alu instid0(VALU_DEP_1)
	v_or_b32_e32 v16, 16, v3
	v_or_b32_e32 v14, 32, v3
	;; [unrolled: 1-line block ×6, first 2 shown]
	v_mov_b32_e32 v17, v4
	v_mov_b32_e32 v15, v4
; %bb.11:
	s_or_saveexec_b32 s1, s0
	v_dual_mov_b32 v8, s12 :: v_dual_mov_b32 v25, s12
	v_dual_mov_b32 v20, s12 :: v_dual_mov_b32 v21, s12
	v_mov_b32_e32 v12, s12
	v_mov_b32_e32 v22, s12
	;; [unrolled: 1-line block ×4, first 2 shown]
                                        ; implicit-def: $vgpr32
                                        ; implicit-def: $vgpr29
                                        ; implicit-def: $vgpr30
                                        ; implicit-def: $vgpr27
                                        ; implicit-def: $vgpr24
                                        ; implicit-def: $vgpr23
                                        ; implicit-def: $vgpr31
                                        ; implicit-def: $vgpr28
	s_xor_b32 exec_lo, exec_lo, s1
	s_cbranch_execz .LBB0_13
; %bb.12:
	s_add_u32 s10, s16, s10
	s_addc_u32 s11, s17, s11
	v_lshlrev_b64 v[11:12], 2, v[18:19]
	s_load_b64 s[10:11], s[10:11], 0x0
	v_or_b32_e32 v9, 64, v3
	v_or_b32_e32 v16, 16, v3
	s_waitcnt lgkmcnt(0)
	v_mul_lo_u32 v0, s11, v5
	v_mul_lo_u32 v4, s10, v6
	v_mad_u64_u32 v[7:8], null, s10, v5, 0
	s_delay_alu instid0(VALU_DEP_1) | instskip(NEXT) | instid1(VALU_DEP_1)
	v_add3_u32 v8, v8, v4, v0
	v_lshlrev_b64 v[7:8], 2, v[7:8]
	s_delay_alu instid0(VALU_DEP_1) | instskip(NEXT) | instid1(VALU_DEP_1)
	v_add_co_u32 v0, s0, s4, v7
	v_add_co_ci_u32_e64 v4, s0, s5, v8, s0
	v_lshlrev_b32_e32 v7, 2, v3
	s_delay_alu instid0(VALU_DEP_3) | instskip(NEXT) | instid1(VALU_DEP_1)
	v_add_co_u32 v0, s0, v0, v11
	v_add_co_ci_u32_e64 v4, s0, v4, v12, s0
	v_or_b32_e32 v11, 0x50, v3
	s_delay_alu instid0(VALU_DEP_3) | instskip(NEXT) | instid1(VALU_DEP_1)
	v_add_co_u32 v13, s0, v0, v7
	v_add_co_ci_u32_e64 v14, s0, 0, v4, s0
	v_mov_b32_e32 v4, 0
	s_clause 0xd
	global_load_b32 v25, v[13:14], off
	global_load_b32 v18, v[13:14], off offset:640
	global_load_b32 v27, v[13:14], off offset:832
	;; [unrolled: 1-line block ×13, first 2 shown]
	v_or_b32_e32 v14, 32, v3
	v_or_b32_e32 v13, 0x60, v3
	;; [unrolled: 1-line block ×3, first 2 shown]
	v_mov_b32_e32 v15, v4
	v_mov_b32_e32 v17, v4
	s_waitcnt vmcnt(12)
	v_lshrrev_b32_e32 v32, 16, v18
	s_waitcnt vmcnt(9)
	v_lshrrev_b32_e32 v30, 16, v19
	s_waitcnt vmcnt(8)
	v_perm_b32 v24, v19, v23, 0x5040100
	v_perm_b32 v23, v27, v23, 0x7060302
	s_waitcnt vmcnt(6)
	v_perm_b32 v31, v18, v28, 0x5040100
	v_perm_b32 v28, v29, v28, 0x7060302
.LBB0_13:
	s_or_b32 exec_lo, exec_lo, s1
	v_mul_u32_u24_e32 v10, 0xe0, v10
	s_waitcnt vmcnt(3)
	v_add_f16_e32 v34, v27, v20
	v_sub_f16_e32 v36, v20, v27
	v_perm_b32 v27, v0, v26, 0x5040100
	v_lshrrev_b32_e32 v18, 16, v0
	v_lshrrev_b32_e32 v35, 16, v21
	v_lshlrev_b32_e32 v0, 1, v10
	s_waitcnt vmcnt(2)
	v_perm_b32 v10, v8, v26, 0x7060302
	v_pk_add_f16 v26, v31, v27
	v_add_f16_e32 v19, v29, v8
	v_add_f16_e32 v33, v32, v18
	v_sub_f16_e32 v18, v18, v32
	v_add_f16_e32 v37, v30, v35
	v_sub_f16_e32 v30, v35, v30
	v_pk_add_f16 v35, v28, v10
	v_lshrrev_b32_e32 v38, 16, v26
	v_pk_add_f16 v10, v10, v28 neg_lo:[0,1] neg_hi:[0,1]
	v_pk_add_f16 v27, v27, v31 neg_lo:[0,1] neg_hi:[0,1]
	v_sub_f16_e32 v29, v8, v29
	v_lshrrev_b32_e32 v40, 16, v35
	v_add_f16_e32 v28, v19, v38
	v_alignbit_b32 v38, v19, v26, 16
	v_pack_b32_f16 v45, v18, v10
	v_lshrrev_b32_e32 v41, 16, v27
	v_add_f16_e32 v42, v40, v33
	v_sub_f16_e32 v19, v19, v26
	v_pk_add_f16 v38, v26, v38 neg_lo:[0,1] neg_hi:[0,1]
	v_add_f16_e32 v46, v18, v10
	v_lshrrev_b32_e32 v48, 16, v10
	v_pk_add_f16 v10, v10, v45 neg_lo:[0,1] neg_hi:[0,1]
	v_sub_f16_e32 v43, v33, v40
	v_sub_f16_e32 v40, v40, v35
	;; [unrolled: 1-line block ×3, first 2 shown]
	v_add_f16_e32 v44, v41, v27
	v_add_f16_e32 v26, v28, v26
	;; [unrolled: 1-line block ×3, first 2 shown]
	v_sub_f16_e32 v18, v18, v48
	v_add_f16_e32 v35, v48, v46
	v_mul_f16_e32 v42, 0xba52, v19
	v_pk_mul_f16 v45, 0x39e02b26, v38
	v_pk_mul_f16 v48, 0x3574b846, v10
	v_lshrrev_b32_e32 v32, 16, v25
	v_sub_f16_e32 v47, v27, v41
	v_sub_f16_e32 v27, v29, v27
	;; [unrolled: 1-line block ×3, first 2 shown]
	v_add_f16_e32 v29, v29, v44
	v_add_f16_e32 v25, v26, v25
	v_mul_f16_e32 v44, 0x3a52, v40
	v_mul_f16_e32 v18, 0x3b00, v18
	v_alignbit_b32 v42, v42, v45, 16
	v_fmamk_f16 v19, v19, 0x3a52, v45
	v_lshrrev_b32_e32 v45, 16, v48
	v_add_f16_e32 v32, v28, v32
	v_mul_f16_e32 v33, 0x2b26, v33
	v_mul_f16_e32 v46, 0x370e, v35
	;; [unrolled: 1-line block ×4, first 2 shown]
	v_fmamk_f16 v26, v26, 0xbcab, v25
	v_pk_fma_f16 v38, 0x39e02b26, v38, v42 neg_lo:[0,1,0] neg_hi:[0,1,0]
	v_fma_f16 v42, v43, 0xb9e0, -v44
	v_add_f16_e32 v44, v45, v48
	v_pk_fma_f16 v10, 0x3574b846, v10, v18 op_sel_hi:[1,1,0] neg_lo:[0,1,0] neg_hi:[0,1,1]
	v_fmamk_f16 v28, v28, 0xbcab, v32
	v_fmamk_f16 v40, v40, 0x3a52, v33
	v_fma_f16 v33, v43, 0x39e0, -v33
	v_fmamk_f16 v43, v27, 0x3574, v47
	v_fma_f16 v41, v41, 0x3b00, -v47
	v_fma_f16 v27, v27, 0xb574, -v49
	v_add_f16_e32 v18, v19, v26
	v_pk_add_f16 v26, v38, v26 op_sel_hi:[1,0]
	v_fmac_f16_e32 v44, 0x370e, v35
	v_pk_add_f16 v10, v10, v46 op_sel_hi:[1,0]
	v_add_nc_u32_e32 v8, 0, v0
	v_add_f16_e32 v19, v40, v28
	v_add_f16_e32 v33, v33, v28
	;; [unrolled: 1-line block ×3, first 2 shown]
	v_fmac_f16_e32 v43, 0x370e, v29
	v_fmac_f16_e32 v27, 0x370e, v29
	;; [unrolled: 1-line block ×3, first 2 shown]
	v_add_f16_e32 v29, v18, v44
	v_pk_add_f16 v38, v26, v10
	v_pk_add_f16 v10, v26, v10 neg_lo:[0,1] neg_hi:[0,1]
	s_waitcnt vmcnt(0)
	v_perm_b32 v21, v21, v22, 0x5040100
	v_perm_b32 v20, v20, v22, 0x7060302
	v_mad_u32_u24 v39, v3, 14, v8
	v_sub_f16_e32 v35, v19, v43
	v_sub_f16_e32 v40, v28, v27
	v_add_f16_e32 v42, v41, v33
	v_sub_f16_e32 v33, v33, v41
	v_add_f16_e32 v41, v27, v28
	v_bfi_b32 v27, 0xffff, v38, v10
	v_alignbit_b32 v26, v10, v38, 16
	v_pack_b32_f16 v25, v25, v29
	v_add_f16_e32 v38, v43, v19
	v_pk_add_f16 v10, v24, v21
	v_pk_add_f16 v19, v23, v20
	v_sub_f16_e32 v18, v18, v44
	s_load_b64 s[2:3], s[2:3], 0x0
	v_pk_add_f16 v21, v21, v24 neg_lo:[0,1] neg_hi:[0,1]
	ds_store_b96 v39, v[25:27]
	ds_store_b16 v39, v18 offset:12
	v_lshrrev_b32_e32 v18, 16, v10
	v_lshrrev_b32_e32 v22, 16, v19
	v_pk_add_f16 v20, v20, v23 neg_lo:[0,1] neg_hi:[0,1]
	v_lshrrev_b32_e32 v24, 16, v21
	v_alignbit_b32 v23, v34, v10, 16
	v_add_f16_e32 v18, v34, v18
	v_add_f16_e32 v25, v22, v37
	v_sub_f16_e32 v27, v34, v10
	v_pack_b32_f16 v34, v30, v20
	v_lshrrev_b32_e32 v31, 16, v12
	v_sub_f16_e32 v26, v37, v22
	v_pk_add_f16 v23, v10, v23 neg_lo:[0,1] neg_hi:[0,1]
	v_sub_f16_e32 v28, v19, v37
	v_add_f16_e32 v29, v24, v21
	v_add_f16_e32 v37, v30, v20
	v_sub_f16_e32 v44, v21, v24
	v_lshrrev_b32_e32 v45, 16, v20
	v_pk_add_f16 v20, v20, v34 neg_lo:[0,1] neg_hi:[0,1]
	v_add_f16_e32 v10, v18, v10
	v_add_f16_e32 v18, v25, v19
	v_sub_f16_e32 v22, v22, v19
	v_sub_f16_e32 v19, v30, v45
	v_add_f16_e32 v25, v36, v29
	v_add_f16_e32 v29, v45, v37
	;; [unrolled: 1-line block ×3, first 2 shown]
	v_pk_mul_f16 v31, 0x39e02b26, v23
	v_mul_f16_e32 v37, 0xb846, v44
	v_pk_mul_f16 v44, 0x3574b846, v20
	v_mul_f16_e32 v45, 0xba52, v27
	v_add_f16_e32 v12, v10, v12
	v_mul_f16_e32 v30, 0x3a52, v22
	v_mul_f16_e32 v28, 0x2b26, v28
	;; [unrolled: 1-line block ×3, first 2 shown]
	v_alignbit_b32 v45, v45, v31, 16
	v_fmamk_f16 v27, v27, 0x3a52, v31
	v_lshrrev_b32_e32 v31, 16, v44
	v_sub_f16_e32 v21, v36, v21
	v_sub_f16_e32 v24, v24, v36
	v_mul_f16_e32 v36, 0x370e, v29
	v_fmamk_f16 v10, v10, 0xbcab, v12
	v_fmamk_f16 v18, v18, 0xbcab, v34
	;; [unrolled: 1-line block ×3, first 2 shown]
	v_fma_f16 v28, v26, 0x39e0, -v28
	v_pk_fma_f16 v23, 0x39e02b26, v23, v45 neg_lo:[0,1,0] neg_hi:[0,1,0]
	v_fma_f16 v26, v26, 0xb9e0, -v30
	v_add_f16_e32 v31, v31, v44
	v_pk_fma_f16 v19, 0x3574b846, v20, v19 op_sel_hi:[1,1,0] neg_lo:[0,1,0] neg_hi:[0,1,1]
	v_add_f16_e32 v27, v27, v10
	v_add_f16_e32 v22, v22, v18
	;; [unrolled: 1-line block ×3, first 2 shown]
	v_pk_add_f16 v10, v23, v10 op_sel_hi:[1,0]
	v_add_f16_e32 v23, v26, v18
	v_pk_add_f16 v18, v19, v36 op_sel_hi:[1,0]
	v_fmac_f16_e32 v31, 0x370e, v29
	v_mad_i32_i24 v43, v16, 14, v8
	v_mul_f16_e32 v46, 0x3b00, v24
	v_fmamk_f16 v30, v21, 0x3574, v37
	v_pk_add_f16 v19, v10, v18
	v_pk_add_f16 v10, v10, v18 neg_lo:[0,1] neg_hi:[0,1]
	v_add_f16_e32 v18, v27, v31
	v_fma_f16 v21, v21, 0xb574, -v46
	v_and_b32_e32 v46, 0xff, v16
	v_fmac_f16_e32 v30, 0x370e, v25
	v_bfi_b32 v20, 0xffff, v19, v10
	v_alignbit_b32 v19, v10, v19, 16
	v_pack_b32_f16 v18, v12, v18
	v_sub_f16_e32 v10, v27, v31
	ds_store_b96 v43, v[18:20]
	ds_store_b16 v43, v10 offset:12
	v_and_b32_e32 v18, 0xff, v3
	v_mul_lo_u16 v19, v46, 37
	v_sub_f16_e32 v36, v22, v30
	v_add_f16_e32 v45, v30, v22
	v_fma_f16 v24, v24, 0x3b00, -v37
	v_mul_lo_u16 v18, v18, 37
	v_lshrrev_b16 v19, 8, v19
	v_fmac_f16_e32 v21, 0x370e, v25
	v_lshlrev_b32_e32 v10, 1, v3
	v_fmac_f16_e32 v24, 0x370e, v25
	v_lshrrev_b16 v18, 8, v18
	v_sub_nc_u16 v22, v16, v19
	v_sub_f16_e32 v37, v23, v21
	v_add_f16_e32 v21, v21, v23
	v_sub_f16_e32 v12, v28, v24
	v_sub_nc_u16 v20, v3, v18
	v_lshrrev_b16 v22, 1, v22
	v_add_f16_e32 v44, v24, v28
	v_add_nc_u32_e32 v24, v8, v10
	v_mad_i32_i24 v26, v16, -12, v43
	v_lshrrev_b16 v20, 1, v20
	v_and_b32_e32 v22, 0x7f, v22
	v_pack_b32_f16 v23, v12, v21
	v_mad_i32_i24 v25, v3, -12, v39
	v_lshl_add_u32 v27, v14, 1, v8
	v_and_b32_e32 v20, 0x7f, v20
	v_add_nc_u16 v19, v22, v19
	v_lshl_add_u32 v28, v7, 1, v8
	v_pack_b32_f16 v22, v37, v44
	v_pack_b32_f16 v21, v34, v36
	v_add_nc_u16 v18, v20, v18
	v_lshrrev_b16 v62, 2, v19
	v_pack_b32_f16 v20, v33, v41
	v_pack_b32_f16 v19, v40, v42
	v_lshl_add_u32 v29, v9, 1, v8
	v_lshrrev_b16 v61, 2, v18
	v_pack_b32_f16 v18, v32, v35
	v_lshl_add_u32 v30, v11, 1, v8
	v_mul_lo_u16 v33, v62, 7
	v_and_b32_e32 v40, 0xff, v14
	v_mul_lo_u16 v32, v61, 7
	s_waitcnt lgkmcnt(0)
	s_barrier
	buffer_gl0_inv
	v_lshl_add_u32 v31, v13, 1, v8
	v_sub_nc_u16 v12, v3, v32
	ds_load_u16 v47, v26
	ds_load_u16 v48, v27
	;; [unrolled: 1-line block ×7, first 2 shown]
	ds_load_u16 v54, v25 offset:224
	ds_load_u16 v55, v25 offset:256
	;; [unrolled: 1-line block ×7, first 2 shown]
	s_waitcnt lgkmcnt(0)
	s_barrier
	buffer_gl0_inv
	ds_store_b96 v39, v[18:20]
	ds_store_b16 v39, v38 offset:12
	ds_store_b96 v43, v[21:23]
	ds_store_b16 v43, v45 offset:12
	v_and_b32_e32 v18, 0xff, v12
	v_and_b32_e32 v12, 0xff, v7
	v_and_b32_e32 v20, 0xff, v9
	v_and_b32_e32 v21, 0xff, v11
	v_and_b32_e32 v22, 0xff, v13
	v_sub_nc_u16 v32, v16, v33
	v_mul_lo_u16 v33, v40, 37
	v_mul_lo_u16 v34, v12, 37
	;; [unrolled: 1-line block ×5, first 2 shown]
	v_lshrrev_b16 v33, 8, v33
	v_lshrrev_b16 v34, 8, v34
	;; [unrolled: 1-line block ×5, first 2 shown]
	v_sub_nc_u16 v38, v14, v33
	v_sub_nc_u16 v39, v7, v34
	;; [unrolled: 1-line block ×5, first 2 shown]
	v_lshrrev_b16 v38, 1, v38
	v_lshrrev_b16 v39, 1, v39
	;; [unrolled: 1-line block ×5, first 2 shown]
	v_and_b32_e32 v38, 0x7f, v38
	v_and_b32_e32 v39, 0x7f, v39
	;; [unrolled: 1-line block ×5, first 2 shown]
	v_add_nc_u16 v33, v38, v33
	v_add_nc_u16 v34, v39, v34
	;; [unrolled: 1-line block ×5, first 2 shown]
	v_lshrrev_b16 v33, 2, v33
	v_lshrrev_b16 v34, 2, v34
	;; [unrolled: 1-line block ×5, first 2 shown]
	v_mul_lo_u16 v38, v33, 7
	v_mul_lo_u16 v39, v34, 7
	;; [unrolled: 1-line block ×5, first 2 shown]
	v_sub_nc_u16 v38, v14, v38
	v_sub_nc_u16 v39, v7, v39
	;; [unrolled: 1-line block ×5, first 2 shown]
	v_and_b32_e32 v19, 0xff, v32
	v_and_b32_e32 v38, 0xff, v38
	;; [unrolled: 1-line block ×6, first 2 shown]
	v_lshlrev_b32_e32 v23, 2, v18
	v_lshlrev_b32_e32 v32, 2, v19
	;; [unrolled: 1-line block ×7, first 2 shown]
	s_waitcnt lgkmcnt(0)
	s_barrier
	buffer_gl0_inv
	s_clause 0x6
	global_load_b32 v23, v23, s[8:9]
	global_load_b32 v32, v32, s[8:9]
	;; [unrolled: 1-line block ×7, first 2 shown]
	v_and_b32_e32 v33, 0xffff, v33
	ds_load_u16 v66, v26
	ds_load_u16 v67, v27
	;; [unrolled: 1-line block ×7, first 2 shown]
	ds_load_u16 v73, v25 offset:224
	ds_load_u16 v74, v25 offset:256
	;; [unrolled: 1-line block ×7, first 2 shown]
	v_and_b32_e32 v61, 0xffff, v61
	v_and_b32_e32 v62, 0xffff, v62
	v_lshlrev_b32_e32 v38, 1, v38
	v_mad_u32_u24 v33, v33, 28, 0
	v_lshlrev_b32_e32 v18, 1, v18
	v_mad_u32_u24 v61, v61, 28, 0
	v_mad_u32_u24 v62, v62, 28, 0
	v_lshlrev_b32_e32 v19, 1, v19
	v_add3_u32 v38, v33, v38, v0
	v_and_b32_e32 v34, 0xffff, v34
	v_add3_u32 v18, v61, v18, v0
	s_waitcnt vmcnt(0) lgkmcnt(0)
	v_add3_u32 v19, v62, v19, v0
	s_barrier
	buffer_gl0_inv
	v_lshrrev_b16 v46, 1, v46
	v_lshrrev_b16 v40, 1, v40
	v_cmp_gt_u32_e64 s0, 14, v3
	s_delay_alu instid0(VALU_DEP_2) | instskip(NEXT) | instid1(VALU_DEP_1)
	v_mul_lo_u16 v40, 0x93, v40
	v_lshrrev_b16 v40, 10, v40
	v_lshrrev_b32_e32 v33, 16, v23
	v_lshrrev_b32_e32 v61, 16, v32
	;; [unrolled: 1-line block ×5, first 2 shown]
	v_mul_f16_e32 v84, v73, v33
	v_mul_f16_e32 v33, v54, v33
	;; [unrolled: 1-line block ×5, first 2 shown]
	v_fma_f16 v54, v54, v23, -v84
	v_fmac_f16_e32 v33, v73, v23
	v_fma_f16 v23, v55, v32, -v85
	v_fmac_f16_e32 v61, v74, v32
	v_fma_f16 v32, v56, v44, -v86
	v_sub_f16_e32 v54, v53, v54
	v_lshrrev_b32_e32 v82, 16, v64
	v_sub_f16_e32 v23, v47, v23
	v_lshrrev_b32_e32 v83, 16, v65
	v_sub_f16_e32 v32, v48, v32
	v_mul_f16_e32 v62, v56, v62
	v_mul_f16_e32 v87, v76, v80
	;; [unrolled: 1-line block ×4, first 2 shown]
	v_fma_f16 v53, v53, 2.0, -v54
	v_mul_f16_e32 v89, v78, v82
	v_fma_f16 v47, v47, 2.0, -v23
	v_fma_f16 v48, v48, 2.0, -v32
	v_mul_f16_e32 v90, v79, v83
	v_fmac_f16_e32 v62, v75, v44
	v_fma_f16 v44, v57, v45, -v87
	v_fmac_f16_e32 v80, v76, v45
	v_fma_f16 v45, v58, v63, -v88
	ds_store_b16 v18, v53
	ds_store_b16 v18, v54 offset:14
	ds_store_b16 v19, v47
	ds_store_b16 v19, v23 offset:14
	v_and_b32_e32 v23, 0xffff, v35
	v_fma_f16 v55, v59, v64, -v89
	ds_store_b16 v38, v48
	ds_store_b16 v38, v32 offset:14
	v_mad_u32_u24 v32, v34, 28, 0
	v_and_b32_e32 v34, 0xffff, v36
	v_fma_f16 v56, v60, v65, -v90
	v_lshlrev_b32_e32 v35, 1, v39
	v_and_b32_e32 v36, 0xffff, v37
	v_mul_f16_e32 v81, v58, v81
	v_mul_f16_e32 v82, v59, v82
	;; [unrolled: 1-line block ×3, first 2 shown]
	v_sub_f16_e32 v57, v72, v33
	v_sub_f16_e32 v59, v67, v62
	;; [unrolled: 1-line block ×4, first 2 shown]
	v_mad_u32_u24 v23, v23, 28, 0
	v_lshlrev_b32_e32 v37, 1, v41
	v_sub_f16_e32 v58, v66, v61
	v_sub_f16_e32 v44, v68, v80
	;; [unrolled: 1-line block ×3, first 2 shown]
	v_mad_u32_u24 v34, v34, 28, 0
	v_lshlrev_b32_e32 v39, 1, v42
	v_sub_f16_e32 v56, v52, v56
	v_add3_u32 v41, v32, v35, v0
	v_mad_u32_u24 v32, v36, 28, 0
	v_lshlrev_b32_e32 v35, 1, v43
	v_fmac_f16_e32 v81, v77, v63
	v_fmac_f16_e32 v83, v79, v65
	v_fma_f16 v63, v72, 2.0, -v57
	v_fma_f16 v65, v67, 2.0, -v59
	;; [unrolled: 1-line block ×4, first 2 shown]
	v_add3_u32 v42, v23, v37, v0
	v_fmac_f16_e32 v82, v78, v64
	v_fma_f16 v64, v66, 2.0, -v58
	v_fma_f16 v66, v68, 2.0, -v44
	;; [unrolled: 1-line block ×3, first 2 shown]
	v_add3_u32 v39, v34, v39, v0
	v_fma_f16 v52, v52, 2.0, -v56
	v_add3_u32 v43, v32, v35, v0
	ds_store_b16 v41, v49
	ds_store_b16 v41, v33 offset:14
	ds_store_b16 v42, v50
	ds_store_b16 v42, v45 offset:14
	;; [unrolled: 2-line block ×4, first 2 shown]
	s_waitcnt lgkmcnt(0)
	s_barrier
	buffer_gl0_inv
	ds_load_u16 v23, v26
	ds_load_u16 v32, v27
	;; [unrolled: 1-line block ×7, first 2 shown]
	ds_load_u16 v45, v25 offset:224
	ds_load_u16 v47, v25 offset:256
	;; [unrolled: 1-line block ×7, first 2 shown]
	s_waitcnt lgkmcnt(0)
	s_barrier
	buffer_gl0_inv
	ds_store_b16 v18, v63
	ds_store_b16 v18, v57 offset:14
	ds_store_b16 v19, v64
	ds_store_b16 v19, v58 offset:14
	;; [unrolled: 2-line block ×4, first 2 shown]
	v_lshrrev_b16 v44, 1, v12
	v_mul_lo_u16 v18, 0x93, v46
	v_lshrrev_b16 v46, 1, v20
	v_lshrrev_b16 v53, 1, v21
	;; [unrolled: 1-line block ×3, first 2 shown]
	v_mul_lo_u16 v44, 0x93, v44
	v_sub_f16_e32 v60, v69, v81
	v_mul_lo_u16 v46, 0x93, v46
	v_mul_lo_u16 v53, 0x93, v53
	;; [unrolled: 1-line block ×3, first 2 shown]
	v_lshrrev_b16 v41, 10, v18
	v_sub_f16_e32 v61, v70, v82
	v_add_nc_u32_e32 v19, -14, v3
	v_lshrrev_b16 v44, 10, v44
	v_sub_f16_e32 v62, v71, v83
	v_lshrrev_b16 v46, 10, v46
	v_lshrrev_b16 v53, 10, v53
	;; [unrolled: 1-line block ×3, first 2 shown]
	v_fma_f16 v67, v69, 2.0, -v60
	v_mul_lo_u16 v38, v41, 14
	v_fma_f16 v68, v70, 2.0, -v61
	v_cndmask_b32_e64 v18, v19, v3, s0
	v_mov_b32_e32 v19, 0
	v_mul_lo_u16 v55, v40, 14
	v_mul_lo_u16 v56, v44, 14
	v_fma_f16 v69, v71, 2.0, -v62
	v_mul_lo_u16 v57, v46, 14
	v_mul_lo_u16 v58, v53, 14
	;; [unrolled: 1-line block ×3, first 2 shown]
	ds_store_b16 v42, v67
	ds_store_b16 v42, v60 offset:14
	v_sub_nc_u16 v42, v16, v38
	ds_store_b16 v39, v68
	ds_store_b16 v39, v61 offset:14
	ds_store_b16 v43, v69
	ds_store_b16 v43, v62 offset:14
	v_lshlrev_b64 v[38:39], 2, v[18:19]
	v_sub_nc_u16 v55, v14, v55
	v_sub_nc_u16 v56, v7, v56
	;; [unrolled: 1-line block ×5, first 2 shown]
	v_and_b32_e32 v42, 0xff, v42
	v_and_b32_e32 v55, 0xff, v55
	v_add_co_u32 v38, s0, s8, v38
	v_and_b32_e32 v56, 0xff, v56
	v_and_b32_e32 v57, 0xff, v57
	;; [unrolled: 1-line block ×4, first 2 shown]
	v_add_co_ci_u32_e64 v39, s0, s9, v39, s0
	v_lshlrev_b32_e32 v43, 2, v42
	v_lshlrev_b32_e32 v60, 2, v55
	v_lshlrev_b32_e32 v61, 2, v56
	v_lshlrev_b32_e32 v62, 2, v57
	v_lshlrev_b32_e32 v63, 2, v58
	v_lshlrev_b32_e32 v64, 2, v59
	s_waitcnt lgkmcnt(0)
	s_barrier
	buffer_gl0_inv
	s_clause 0x6
	global_load_b32 v65, v[38:39], off offset:28
	global_load_b32 v43, v43, s[8:9] offset:28
	global_load_b32 v60, v60, s[8:9] offset:28
	;; [unrolled: 1-line block ×6, first 2 shown]
	v_lshrrev_b16 v22, 2, v22
	v_and_b32_e32 v41, 0xffff, v41
	v_and_b32_e32 v40, 0xffff, v40
	;; [unrolled: 1-line block ×4, first 2 shown]
	v_mul_lo_u16 v22, v22, 37
	v_and_b32_e32 v53, 0xffff, v53
	v_and_b32_e32 v54, 0xffff, v54
	v_lshlrev_b64 v[38:39], 2, v[3:4]
	v_cmp_lt_u32_e64 s0, 13, v3
	v_lshrrev_b16 v22, 8, v22
	v_mad_u32_u24 v41, v41, 56, 0
	v_mad_u32_u24 v40, v40, 56, 0
	;; [unrolled: 1-line block ×4, first 2 shown]
	v_mul_lo_u16 v22, v22, 28
	v_mad_u32_u24 v53, v53, 56, 0
	v_mad_u32_u24 v54, v54, 56, 0
	v_cndmask_b32_e64 v66, 0, 56, s0
	v_lshrrev_b16 v67, 2, v20
	v_sub_nc_u16 v22, v13, v22
	v_add_co_u32 v20, s0, s8, v38
	v_lshrrev_b16 v68, 2, v21
	v_add_co_ci_u32_e64 v21, s0, s9, v39, s0
	s_delay_alu instid0(VALU_DEP_4)
	v_and_b32_e32 v70, 0xff, v22
	v_lshlrev_b32_e32 v22, 1, v42
	v_lshlrev_b32_e32 v42, 1, v55
	;; [unrolled: 1-line block ×6, first 2 shown]
	v_add3_u32 v22, v41, v22, v0
	v_add3_u32 v40, v40, v42, v0
	;; [unrolled: 1-line block ×6, first 2 shown]
	ds_load_u16 v53, v24
	ds_load_u16 v54, v25 offset:224
	ds_load_u16 v55, v25 offset:256
	ds_load_u16 v56, v26
	ds_load_u16 v57, v27
	;; [unrolled: 1-line block ×6, first 2 shown]
	ds_load_u16 v77, v25 offset:288
	ds_load_u16 v78, v25 offset:320
	;; [unrolled: 1-line block ×5, first 2 shown]
	v_add_nc_u32_e32 v4, -12, v3
	v_lshrrev_b16 v12, 2, v12
	v_cmp_gt_u32_e64 s0, 28, v16
	v_lshlrev_b32_e32 v38, 1, v18
	v_add_nc_u32_e32 v66, 0, v66
	v_lshlrev_b32_e32 v73, 2, v70
	s_waitcnt vmcnt(0) lgkmcnt(0)
	v_cndmask_b32_e64 v18, v4, v16, s0
	v_mul_lo_u16 v4, v12, 37
	v_mul_lo_u16 v12, v67, 37
	;; [unrolled: 1-line block ×3, first 2 shown]
	v_add3_u32 v66, v66, v38, v0
	v_lshlrev_b64 v[38:39], 2, v[18:19]
	v_lshrrev_b16 v4, 8, v4
	v_lshrrev_b16 v12, 8, v12
	;; [unrolled: 1-line block ×3, first 2 shown]
	s_barrier
	buffer_gl0_inv
	v_mul_lo_u16 v68, v4, 28
	v_mul_lo_u16 v12, v12, 28
	;; [unrolled: 1-line block ×3, first 2 shown]
	v_add_co_u32 v38, s0, s8, v38
	s_delay_alu instid0(VALU_DEP_4) | instskip(NEXT) | instid1(VALU_DEP_4)
	v_sub_nc_u16 v68, v7, v68
	v_sub_nc_u16 v12, v9, v12
	s_delay_alu instid0(VALU_DEP_4) | instskip(SKIP_1) | instid1(VALU_DEP_4)
	v_sub_nc_u16 v69, v11, v69
	v_add_co_ci_u32_e64 v39, s0, s9, v39, s0
	v_and_b32_e32 v68, 0xff, v68
	s_delay_alu instid0(VALU_DEP_4) | instskip(NEXT) | instid1(VALU_DEP_4)
	v_and_b32_e32 v12, 0xff, v12
	v_and_b32_e32 v69, 0xff, v69
	v_cmp_lt_u32_e64 s0, 27, v16
	v_lshlrev_b64 v[16:17], 2, v[16:17]
	v_lshlrev_b32_e32 v59, 2, v68
	v_lshlrev_b32_e32 v71, 2, v12
	;; [unrolled: 1-line block ×3, first 2 shown]
	v_and_b32_e32 v4, 0xffff, v4
	v_lshl_add_u32 v12, v12, 1, v8
	v_lshl_add_u32 v8, v70, 1, v8
	v_add3_u32 v10, 0, v10, v0
	s_delay_alu instid0(VALU_DEP_4)
	v_mad_u32_u24 v4, 0x70, v4, 0
	v_lshrrev_b32_e32 v82, 16, v65
	v_lshrrev_b32_e32 v83, 16, v43
	;; [unrolled: 1-line block ×6, first 2 shown]
	v_mul_f16_e32 v88, v54, v82
	v_lshrrev_b32_e32 v89, 16, v64
	v_mul_f16_e32 v82, v45, v82
	v_mul_f16_e32 v90, v55, v83
	;; [unrolled: 1-line block ×3, first 2 shown]
	v_fma_f16 v45, v45, v65, -v88
	v_mul_f16_e32 v88, v77, v84
	v_mul_f16_e32 v84, v48, v84
	v_fmac_f16_e32 v82, v54, v65
	v_mul_f16_e32 v54, v78, v85
	v_mul_f16_e32 v65, v49, v85
	;; [unrolled: 1-line block ×3, first 2 shown]
	v_fma_f16 v47, v47, v43, -v90
	v_mul_f16_e32 v90, v80, v87
	v_fmac_f16_e32 v83, v55, v43
	v_mul_f16_e32 v43, v81, v89
	v_mul_f16_e32 v86, v50, v86
	;; [unrolled: 1-line block ×4, first 2 shown]
	v_fma_f16 v48, v48, v60, -v88
	v_fmac_f16_e32 v84, v77, v60
	v_fma_f16 v50, v50, v62, -v85
	v_fma_f16 v51, v51, v63, -v90
	v_fma_f16 v43, v52, v64, -v43
	v_fma_f16 v49, v49, v61, -v54
	v_fmac_f16_e32 v65, v78, v61
	v_fmac_f16_e32 v86, v79, v62
	;; [unrolled: 1-line block ×4, first 2 shown]
	v_sub_f16_e32 v45, v37, v45
	v_sub_f16_e32 v52, v53, v82
	v_sub_f16_e32 v47, v23, v47
	v_sub_f16_e32 v54, v56, v83
	v_sub_f16_e32 v48, v32, v48
	v_sub_f16_e32 v60, v57, v84
	v_sub_f16_e32 v50, v34, v50
	v_sub_f16_e32 v51, v35, v51
	v_sub_f16_e32 v43, v36, v43
	v_sub_f16_e32 v49, v33, v49
	v_sub_f16_e32 v61, v58, v65
	v_sub_f16_e32 v62, v74, v86
	v_sub_f16_e32 v63, v75, v87
	v_sub_f16_e32 v55, v76, v55
	v_fma_f16 v37, v37, 2.0, -v45
	v_fma_f16 v53, v53, 2.0, -v52
	;; [unrolled: 1-line block ×14, first 2 shown]
	ds_store_b16 v66, v37
	ds_store_b16 v66, v45 offset:28
	ds_store_b16 v22, v23
	ds_store_b16 v22, v47 offset:28
	ds_store_b16 v40, v32
	ds_store_b16 v40, v48 offset:28
	ds_store_b16 v41, v33
	ds_store_b16 v41, v49 offset:28
	ds_store_b16 v42, v34
	ds_store_b16 v42, v50 offset:28
	ds_store_b16 v44, v35
	ds_store_b16 v44, v51 offset:28
	ds_store_b16 v46, v36
	ds_store_b16 v46, v43 offset:28
	s_waitcnt lgkmcnt(0)
	s_barrier
	buffer_gl0_inv
	ds_load_u16 v34, v26
	ds_load_u16 v35, v27
	;; [unrolled: 1-line block ×7, first 2 shown]
	ds_load_u16 v48, v25 offset:224
	ds_load_u16 v49, v25 offset:256
	;; [unrolled: 1-line block ×7, first 2 shown]
	s_waitcnt lgkmcnt(0)
	s_barrier
	buffer_gl0_inv
	ds_store_b16 v66, v53
	ds_store_b16 v66, v52 offset:28
	ds_store_b16 v22, v56
	ds_store_b16 v22, v54 offset:28
	;; [unrolled: 2-line block ×7, first 2 shown]
	s_waitcnt lgkmcnt(0)
	s_barrier
	buffer_gl0_inv
	s_clause 0x6
	global_load_b32 v40, v[20:21], off offset:84
	global_load_b32 v41, v59, s[8:9] offset:84
	global_load_b32 v42, v71, s[8:9] offset:84
	global_load_b32 v44, v72, s[8:9] offset:84
	global_load_b32 v46, v73, s[8:9] offset:84
	global_load_b32 v38, v[38:39], off offset:84
	global_load_b32 v39, v[20:21], off offset:100
	v_lshlrev_b64 v[22:23], 2, v[14:15]
	v_cndmask_b32_e64 v32, 0, 0x70, s0
	v_add_co_u32 v15, s0, s8, v16
	s_delay_alu instid0(VALU_DEP_1) | instskip(NEXT) | instid1(VALU_DEP_4)
	v_add_co_ci_u32_e64 v16, s0, s9, v17, s0
	v_add_co_u32 v22, s0, s8, v22
	s_delay_alu instid0(VALU_DEP_1)
	v_add_co_ci_u32_e64 v23, s0, s9, v23, s0
	v_add_nc_u32_e32 v14, -8, v3
	v_cmp_gt_u32_e64 s0, 56, v7
	v_lshlrev_b32_e32 v17, 1, v18
	v_lshlrev_b32_e32 v52, 1, v68
	;; [unrolled: 1-line block ×3, first 2 shown]
	v_add_nc_u32_e32 v32, 0, v32
	v_cndmask_b32_e64 v18, v14, v7, s0
	v_and_b32_e32 v14, 0xffff, v67
	v_add3_u32 v4, v4, v52, v0
	s_delay_alu instid0(VALU_DEP_4) | instskip(NEXT) | instid1(VALU_DEP_4)
	v_add3_u32 v17, v32, v17, v0
	v_lshlrev_b64 v[32:33], 2, v[18:19]
	s_delay_alu instid0(VALU_DEP_4) | instskip(SKIP_1) | instid1(VALU_DEP_2)
	v_mad_u32_u24 v14, 0x70, v14, 0
	v_lshlrev_b32_e32 v18, 1, v18
	v_add3_u32 v14, v14, v53, v0
	ds_load_u16 v52, v24
	ds_load_u16 v53, v25 offset:224
	ds_load_u16 v54, v25 offset:256
	;; [unrolled: 1-line block ×3, first 2 shown]
	ds_load_u16 v56, v26
	ds_load_u16 v57, v27
	;; [unrolled: 1-line block ×6, first 2 shown]
	ds_load_u16 v62, v25 offset:320
	ds_load_u16 v63, v25 offset:352
	;; [unrolled: 1-line block ×4, first 2 shown]
	v_add_co_u32 v32, s0, s8, v32
	s_delay_alu instid0(VALU_DEP_1)
	v_add_co_ci_u32_e64 v33, s0, s9, v33, s0
	s_waitcnt vmcnt(0) lgkmcnt(0)
	s_barrier
	buffer_gl0_inv
	v_cmp_lt_u32_e64 s0, 55, v7
	v_lshrrev_b32_e32 v66, 16, v40
	v_lshrrev_b32_e32 v69, 16, v41
	;; [unrolled: 1-line block ×7, first 2 shown]
	v_mul_f16_e32 v73, v53, v66
	v_mul_f16_e32 v66, v48, v66
	;; [unrolled: 1-line block ×14, first 2 shown]
	v_fma_f16 v48, v48, v40, -v73
	v_fmac_f16_e32 v66, v53, v40
	v_fma_f16 v40, v49, v38, -v74
	v_fmac_f16_e32 v67, v54, v38
	;; [unrolled: 2-line block ×7, first 2 shown]
	v_sub_f16_e32 v46, v47, v48
	v_sub_f16_e32 v48, v52, v66
	;; [unrolled: 1-line block ×14, first 2 shown]
	v_fma_f16 v47, v47, 2.0, -v46
	v_fma_f16 v52, v52, 2.0, -v48
	;; [unrolled: 1-line block ×14, first 2 shown]
	ds_store_b16 v25, v47
	ds_store_b16 v25, v46 offset:56
	ds_store_b16 v17, v34
	ds_store_b16 v17, v40 offset:56
	ds_store_b16 v10, v35 offset:120
	ds_store_b16 v10, v38 offset:176
	ds_store_b16 v4, v36
	ds_store_b16 v4, v39 offset:56
	ds_store_b16 v12, v37 offset:224
	;; [unrolled: 4-line block ×3, first 2 shown]
	ds_store_b16 v8, v44 offset:392
	s_waitcnt lgkmcnt(0)
	s_barrier
	buffer_gl0_inv
	ds_load_u16 v34, v26
	ds_load_u16 v35, v27
	;; [unrolled: 1-line block ×7, first 2 shown]
	ds_load_u16 v41, v25 offset:224
	ds_load_u16 v42, v25 offset:256
	;; [unrolled: 1-line block ×7, first 2 shown]
	s_waitcnt lgkmcnt(0)
	s_barrier
	buffer_gl0_inv
	ds_store_b16 v25, v52
	ds_store_b16 v25, v48 offset:56
	ds_store_b16 v17, v56
	ds_store_b16 v17, v49 offset:56
	ds_store_b16 v10, v57 offset:120
	ds_store_b16 v10, v50 offset:176
	ds_store_b16 v4, v58
	ds_store_b16 v4, v51 offset:56
	ds_store_b16 v12, v59 offset:224
	ds_store_b16 v12, v53 offset:280
	ds_store_b16 v14, v60
	ds_store_b16 v14, v54 offset:56
	ds_store_b16 v8, v61 offset:336
	ds_store_b16 v8, v55 offset:392
	s_waitcnt lgkmcnt(0)
	s_barrier
	buffer_gl0_inv
	s_clause 0x6
	global_load_b32 v4, v[20:21], off offset:196
	global_load_b32 v8, v[15:16], off offset:196
	;; [unrolled: 1-line block ×7, first 2 shown]
	v_cndmask_b32_e64 v48, 0, 0xe0, s0
	s_delay_alu instid0(VALU_DEP_1) | instskip(NEXT) | instid1(VALU_DEP_1)
	v_add_nc_u32_e32 v48, 0, v48
	v_add3_u32 v18, v48, v18, v0
	ds_load_u16 v0, v24
	ds_load_u16 v48, v25 offset:224
	ds_load_u16 v49, v25 offset:256
	;; [unrolled: 1-line block ×3, first 2 shown]
	ds_load_u16 v51, v26
	ds_load_u16 v52, v27
	;; [unrolled: 1-line block ×6, first 2 shown]
	ds_load_u16 v57, v25 offset:320
	ds_load_u16 v58, v25 offset:352
	;; [unrolled: 1-line block ×4, first 2 shown]
	s_waitcnt vmcnt(0) lgkmcnt(0)
	s_barrier
	buffer_gl0_inv
	v_lshrrev_b32_e32 v61, 16, v4
	v_lshrrev_b32_e32 v62, 16, v8
	;; [unrolled: 1-line block ×7, first 2 shown]
	v_mul_f16_e32 v68, v48, v61
	v_mul_f16_e32 v61, v41, v61
	;; [unrolled: 1-line block ×14, first 2 shown]
	v_fma_f16 v41, v41, v4, -v68
	v_fmac_f16_e32 v61, v48, v4
	v_fma_f16 v4, v42, v8, -v69
	v_fmac_f16_e32 v62, v49, v8
	;; [unrolled: 2-line block ×7, first 2 shown]
	v_sub_f16_e32 v33, v40, v41
	v_sub_f16_e32 v43, v0, v61
	;; [unrolled: 1-line block ×8, first 2 shown]
	v_fma_f16 v40, v40, 2.0, -v33
	v_fma_f16 v50, v0, 2.0, -v43
	;; [unrolled: 1-line block ×8, first 2 shown]
	ds_store_b16 v25, v40
	ds_store_b16 v25, v33 offset:112
	ds_store_b16 v26, v0
	ds_store_b16 v26, v4 offset:112
	;; [unrolled: 2-line block ×4, first 2 shown]
	ds_store_b16 v10, v36 offset:240
	ds_store_b16 v10, v37 offset:272
	ds_store_b16 v10, v38 offset:304
	ds_store_b16 v10, v14 offset:352
	ds_store_b16 v10, v17 offset:384
	ds_store_b16 v10, v32 offset:416
	s_waitcnt lgkmcnt(0)
	s_barrier
	buffer_gl0_inv
	ds_load_u16 v0, v26
	ds_load_u16 v4, v27
	;; [unrolled: 1-line block ×7, first 2 shown]
	ds_load_u16 v36, v25 offset:224
	ds_load_u16 v37, v25 offset:256
	;; [unrolled: 1-line block ×7, first 2 shown]
	v_sub_f16_e32 v44, v51, v62
	v_sub_f16_e32 v45, v52, v63
	;; [unrolled: 1-line block ×6, first 2 shown]
	v_fma_f16 v51, v51, 2.0, -v44
	v_fma_f16 v52, v52, 2.0, -v45
	;; [unrolled: 1-line block ×6, first 2 shown]
	s_waitcnt lgkmcnt(0)
	s_barrier
	buffer_gl0_inv
	ds_store_b16 v25, v50
	ds_store_b16 v25, v43 offset:112
	ds_store_b16 v26, v51
	ds_store_b16 v26, v44 offset:112
	;; [unrolled: 2-line block ×4, first 2 shown]
	ds_store_b16 v10, v54 offset:240
	ds_store_b16 v10, v55 offset:272
	;; [unrolled: 1-line block ×6, first 2 shown]
	s_waitcnt lgkmcnt(0)
	s_barrier
	buffer_gl0_inv
	s_and_saveexec_b32 s0, vcc_lo
	s_cbranch_execz .LBB0_15
; %bb.14:
	v_mov_b32_e32 v14, v19
	v_mov_b32_e32 v12, v19
	;; [unrolled: 1-line block ×4, first 2 shown]
	v_lshlrev_b64 v[1:2], 2, v[1:2]
	v_lshlrev_b64 v[13:14], 2, v[13:14]
	;; [unrolled: 1-line block ×5, first 2 shown]
	s_delay_alu instid0(VALU_DEP_4)
	v_add_co_u32 v13, vcc_lo, s8, v13
	v_add_co_ci_u32_e32 v14, vcc_lo, s9, v14, vcc_lo
	v_add_co_u32 v11, vcc_lo, s8, v11
	v_add_co_ci_u32_e32 v12, vcc_lo, s9, v12, vcc_lo
	;; [unrolled: 2-line block ×4, first 2 shown]
	s_clause 0x6
	global_load_b32 v45, v[13:14], off offset:420
	global_load_b32 v46, v[11:12], off offset:420
	;; [unrolled: 1-line block ×7, first 2 shown]
	v_add_nc_u32_e32 v15, 0x60, v3
	v_mul_lo_u32 v8, s3, v5
	v_mul_lo_u32 v9, s2, v6
	v_mad_u64_u32 v[6:7], null, s2, v5, 0
	v_lshrrev_b32_e32 v5, 4, v3
	v_add_nc_u32_e32 v10, 16, v3
	v_add_nc_u32_e32 v11, 32, v3
	;; [unrolled: 1-line block ×5, first 2 shown]
	v_mul_hi_u32 v5, 0x24924925, v5
	v_lshrrev_b32_e32 v16, 4, v10
	v_lshrrev_b32_e32 v18, 4, v11
	;; [unrolled: 1-line block ×6, first 2 shown]
	v_add3_u32 v7, v7, v9, v8
	v_mul_hi_u32 v16, 0x24924925, v16
	v_mul_hi_u32 v18, 0x24924925, v18
	;; [unrolled: 1-line block ×6, first 2 shown]
	v_mul_lo_u32 v8, 0x70, v5
	v_lshlrev_b64 v[5:6], 2, v[6:7]
	v_mul_lo_u32 v7, 0x70, v16
	v_mul_lo_u32 v9, 0x70, v18
	ds_load_u16 v52, v25 offset:416
	ds_load_u16 v53, v25 offset:384
	;; [unrolled: 1-line block ×6, first 2 shown]
	ds_load_u16 v31, v31
	ds_load_u16 v58, v30
	;; [unrolled: 1-line block ×6, first 2 shown]
	ds_load_u16 v63, v25 offset:224
	ds_load_u16 v64, v24
	v_mul_lo_u32 v24, 0x70, v20
	v_mul_lo_u32 v25, 0x70, v21
	v_add_co_u32 v5, vcc_lo, s6, v5
	v_mul_lo_u32 v26, 0x70, v22
	v_mul_lo_u32 v27, 0x70, v23
	v_add_co_ci_u32_e32 v6, vcc_lo, s7, v6, vcc_lo
	v_sub_nc_u32_e32 v3, v3, v8
	v_add_co_u32 v65, vcc_lo, v5, v1
	s_delay_alu instid0(VALU_DEP_3)
	v_add_co_ci_u32_e32 v66, vcc_lo, v6, v2, vcc_lo
	v_sub_nc_u32_e32 v1, v10, v7
	v_sub_nc_u32_e32 v2, v11, v9
	v_lshlrev_b32_e32 v8, 2, v3
	v_sub_nc_u32_e32 v3, v12, v24
	v_sub_nc_u32_e32 v5, v13, v25
	v_sub_nc_u32_e32 v6, v14, v26
	v_sub_nc_u32_e32 v7, v15, v27
	v_mad_u64_u32 v[10:11], null, 0xe0, v16, v[1:2]
	v_mad_u64_u32 v[12:13], null, 0xe0, v18, v[2:3]
	;; [unrolled: 1-line block ×5, first 2 shown]
	v_mov_b32_e32 v21, v19
	v_add_co_u32 v8, vcc_lo, v65, v8
	v_mov_b32_e32 v11, v19
	v_mov_b32_e32 v13, v19
	v_mov_b32_e32 v2, v19
	s_delay_alu instid0(VALU_DEP_4) | instskip(NEXT) | instid1(VALU_DEP_4)
	v_mad_u64_u32 v[5:6], null, 0xe0, v23, v[7:8]
	v_lshlrev_b64 v[22:23], 2, v[10:11]
	v_add_nc_u32_e32 v18, 0x70, v10
	v_lshlrev_b64 v[10:11], 2, v[12:13]
	v_mov_b32_e32 v15, v19
	v_add_co_ci_u32_e32 v9, vcc_lo, 0, v66, vcc_lo
	v_lshlrev_b64 v[2:3], 2, v[1:2]
	v_lshlrev_b64 v[26:27], 2, v[18:19]
	v_add_nc_u32_e32 v18, 0x70, v12
	v_add_co_u32 v12, vcc_lo, v65, v22
	v_add_co_ci_u32_e32 v13, vcc_lo, v66, v23, vcc_lo
	v_lshlrev_b64 v[15:16], 2, v[14:15]
	v_add_co_u32 v10, vcc_lo, v65, v10
	v_mov_b32_e32 v6, v19
	v_add_co_ci_u32_e32 v11, vcc_lo, v66, v11, vcc_lo
	v_lshlrev_b64 v[24:25], 2, v[20:21]
	v_add_co_u32 v2, vcc_lo, v65, v2
	v_add_co_ci_u32_e32 v3, vcc_lo, v66, v3, vcc_lo
	v_lshlrev_b64 v[6:7], 2, v[5:6]
	v_add_co_u32 v15, vcc_lo, v65, v15
	v_add_co_ci_u32_e32 v16, vcc_lo, v66, v16, vcc_lo
	v_add_co_u32 v21, vcc_lo, v65, v24
	v_add_co_ci_u32_e32 v22, vcc_lo, v66, v25, vcc_lo
	v_add_co_u32 v6, vcc_lo, v65, v6
	v_lshlrev_b64 v[23:24], 2, v[18:19]
	v_add_nc_u32_e32 v18, 0x70, v1
	v_add_co_ci_u32_e32 v7, vcc_lo, v66, v7, vcc_lo
	v_add_co_u32 v25, vcc_lo, v65, v26
	v_add_co_ci_u32_e32 v26, vcc_lo, v66, v27, vcc_lo
	s_delay_alu instid0(VALU_DEP_4) | instskip(SKIP_3) | instid1(VALU_DEP_3)
	v_lshlrev_b64 v[27:28], 2, v[18:19]
	v_add_nc_u32_e32 v18, 0x70, v14
	v_add_co_u32 v23, vcc_lo, v65, v23
	v_add_co_ci_u32_e32 v24, vcc_lo, v66, v24, vcc_lo
	v_lshlrev_b64 v[29:30], 2, v[18:19]
	v_add_nc_u32_e32 v18, 0x70, v20
	v_add_co_u32 v27, vcc_lo, v65, v27
	v_add_co_ci_u32_e32 v28, vcc_lo, v66, v28, vcc_lo
	s_delay_alu instid0(VALU_DEP_3) | instskip(SKIP_3) | instid1(VALU_DEP_3)
	v_lshlrev_b64 v[43:44], 2, v[18:19]
	v_add_nc_u32_e32 v18, 0x70, v5
	v_add_co_u32 v29, vcc_lo, v65, v29
	v_add_co_ci_u32_e32 v30, vcc_lo, v66, v30, vcc_lo
	v_lshlrev_b64 v[18:19], 2, v[18:19]
	v_add_co_u32 v43, vcc_lo, v65, v43
	v_add_co_ci_u32_e32 v44, vcc_lo, v66, v44, vcc_lo
	s_delay_alu instid0(VALU_DEP_3) | instskip(NEXT) | instid1(VALU_DEP_4)
	v_add_co_u32 v18, vcc_lo, v65, v18
	v_add_co_ci_u32_e32 v19, vcc_lo, v66, v19, vcc_lo
	s_waitcnt vmcnt(6)
	v_lshrrev_b32_e32 v1, 16, v45
	s_waitcnt vmcnt(5)
	v_lshrrev_b32_e32 v5, 16, v46
	;; [unrolled: 2-line block ×7, first 2 shown]
	s_waitcnt lgkmcnt(13)
	v_mul_f16_e32 v68, v52, v1
	v_mul_f16_e32 v1, v42, v1
	s_waitcnt lgkmcnt(9)
	v_mul_f16_e32 v72, v56, v65
	s_waitcnt lgkmcnt(8)
	;; [unrolled: 2-line block ×3, first 2 shown]
	v_mul_f16_e32 v74, v63, v67
	v_mul_f16_e32 v67, v36, v67
	;; [unrolled: 1-line block ×10, first 2 shown]
	v_fma_f16 v36, v36, v51, -v74
	v_fmac_f16_e32 v67, v51, v63
	v_fma_f16 v37, v37, v50, -v73
	v_fmac_f16_e32 v66, v50, v57
	v_fma_f16 v38, v38, v49, -v72
	v_fmac_f16_e32 v65, v49, v56
	v_fma_f16 v42, v42, v45, -v68
	v_fmac_f16_e32 v1, v45, v52
	v_fma_f16 v41, v41, v46, -v69
	v_fmac_f16_e32 v5, v46, v53
	v_fma_f16 v40, v40, v47, -v70
	v_fmac_f16_e32 v14, v47, v54
	v_fma_f16 v39, v39, v48, -v71
	v_fmac_f16_e32 v20, v48, v55
	v_sub_f16_e32 v36, v32, v36
	s_waitcnt lgkmcnt(0)
	v_sub_f16_e32 v47, v64, v67
	v_sub_f16_e32 v37, v0, v37
	;; [unrolled: 1-line block ×13, first 2 shown]
	v_fma_f16 v32, v32, 2.0, -v36
	v_fma_f16 v53, v64, 2.0, -v47
	;; [unrolled: 1-line block ×14, first 2 shown]
	v_pack_b32_f16 v32, v32, v53
	v_pack_b32_f16 v36, v36, v47
	;; [unrolled: 1-line block ×14, first 2 shown]
	s_clause 0xd
	global_store_b32 v[8:9], v32, off
	global_store_b32 v[8:9], v36, off offset:448
	global_store_b32 v[12:13], v0, off
	global_store_b32 v[25:26], v37, off
	;; [unrolled: 1-line block ×12, first 2 shown]
.LBB0_15:
	s_nop 0
	s_sendmsg sendmsg(MSG_DEALLOC_VGPRS)
	s_endpgm
	.section	.rodata,"a",@progbits
	.p2align	6, 0x0
	.amdhsa_kernel fft_rtc_fwd_len224_factors_7_2_2_2_2_2_wgs_64_tpt_16_halfLds_half_op_CI_CI_unitstride_sbrr_dirReg
		.amdhsa_group_segment_fixed_size 0
		.amdhsa_private_segment_fixed_size 0
		.amdhsa_kernarg_size 104
		.amdhsa_user_sgpr_count 15
		.amdhsa_user_sgpr_dispatch_ptr 0
		.amdhsa_user_sgpr_queue_ptr 0
		.amdhsa_user_sgpr_kernarg_segment_ptr 1
		.amdhsa_user_sgpr_dispatch_id 0
		.amdhsa_user_sgpr_private_segment_size 0
		.amdhsa_wavefront_size32 1
		.amdhsa_uses_dynamic_stack 0
		.amdhsa_enable_private_segment 0
		.amdhsa_system_sgpr_workgroup_id_x 1
		.amdhsa_system_sgpr_workgroup_id_y 0
		.amdhsa_system_sgpr_workgroup_id_z 0
		.amdhsa_system_sgpr_workgroup_info 0
		.amdhsa_system_vgpr_workitem_id 0
		.amdhsa_next_free_vgpr 91
		.amdhsa_next_free_sgpr 27
		.amdhsa_reserve_vcc 1
		.amdhsa_float_round_mode_32 0
		.amdhsa_float_round_mode_16_64 0
		.amdhsa_float_denorm_mode_32 3
		.amdhsa_float_denorm_mode_16_64 3
		.amdhsa_dx10_clamp 1
		.amdhsa_ieee_mode 1
		.amdhsa_fp16_overflow 0
		.amdhsa_workgroup_processor_mode 1
		.amdhsa_memory_ordered 1
		.amdhsa_forward_progress 0
		.amdhsa_shared_vgpr_count 0
		.amdhsa_exception_fp_ieee_invalid_op 0
		.amdhsa_exception_fp_denorm_src 0
		.amdhsa_exception_fp_ieee_div_zero 0
		.amdhsa_exception_fp_ieee_overflow 0
		.amdhsa_exception_fp_ieee_underflow 0
		.amdhsa_exception_fp_ieee_inexact 0
		.amdhsa_exception_int_div_zero 0
	.end_amdhsa_kernel
	.text
.Lfunc_end0:
	.size	fft_rtc_fwd_len224_factors_7_2_2_2_2_2_wgs_64_tpt_16_halfLds_half_op_CI_CI_unitstride_sbrr_dirReg, .Lfunc_end0-fft_rtc_fwd_len224_factors_7_2_2_2_2_2_wgs_64_tpt_16_halfLds_half_op_CI_CI_unitstride_sbrr_dirReg
                                        ; -- End function
	.section	.AMDGPU.csdata,"",@progbits
; Kernel info:
; codeLenInByte = 10584
; NumSgprs: 29
; NumVgprs: 91
; ScratchSize: 0
; MemoryBound: 0
; FloatMode: 240
; IeeeMode: 1
; LDSByteSize: 0 bytes/workgroup (compile time only)
; SGPRBlocks: 3
; VGPRBlocks: 11
; NumSGPRsForWavesPerEU: 29
; NumVGPRsForWavesPerEU: 91
; Occupancy: 16
; WaveLimiterHint : 1
; COMPUTE_PGM_RSRC2:SCRATCH_EN: 0
; COMPUTE_PGM_RSRC2:USER_SGPR: 15
; COMPUTE_PGM_RSRC2:TRAP_HANDLER: 0
; COMPUTE_PGM_RSRC2:TGID_X_EN: 1
; COMPUTE_PGM_RSRC2:TGID_Y_EN: 0
; COMPUTE_PGM_RSRC2:TGID_Z_EN: 0
; COMPUTE_PGM_RSRC2:TIDIG_COMP_CNT: 0
	.text
	.p2alignl 7, 3214868480
	.fill 96, 4, 3214868480
	.type	__hip_cuid_86e3074286e5b1fa,@object ; @__hip_cuid_86e3074286e5b1fa
	.section	.bss,"aw",@nobits
	.globl	__hip_cuid_86e3074286e5b1fa
__hip_cuid_86e3074286e5b1fa:
	.byte	0                               ; 0x0
	.size	__hip_cuid_86e3074286e5b1fa, 1

	.ident	"AMD clang version 19.0.0git (https://github.com/RadeonOpenCompute/llvm-project roc-6.4.0 25133 c7fe45cf4b819c5991fe208aaa96edf142730f1d)"
	.section	".note.GNU-stack","",@progbits
	.addrsig
	.addrsig_sym __hip_cuid_86e3074286e5b1fa
	.amdgpu_metadata
---
amdhsa.kernels:
  - .args:
      - .actual_access:  read_only
        .address_space:  global
        .offset:         0
        .size:           8
        .value_kind:     global_buffer
      - .offset:         8
        .size:           8
        .value_kind:     by_value
      - .actual_access:  read_only
        .address_space:  global
        .offset:         16
        .size:           8
        .value_kind:     global_buffer
      - .actual_access:  read_only
        .address_space:  global
        .offset:         24
        .size:           8
        .value_kind:     global_buffer
      - .actual_access:  read_only
        .address_space:  global
        .offset:         32
        .size:           8
        .value_kind:     global_buffer
      - .offset:         40
        .size:           8
        .value_kind:     by_value
      - .actual_access:  read_only
        .address_space:  global
        .offset:         48
        .size:           8
        .value_kind:     global_buffer
      - .actual_access:  read_only
        .address_space:  global
        .offset:         56
        .size:           8
        .value_kind:     global_buffer
      - .offset:         64
        .size:           4
        .value_kind:     by_value
      - .actual_access:  read_only
        .address_space:  global
        .offset:         72
        .size:           8
        .value_kind:     global_buffer
      - .actual_access:  read_only
        .address_space:  global
        .offset:         80
        .size:           8
        .value_kind:     global_buffer
      - .actual_access:  read_only
        .address_space:  global
        .offset:         88
        .size:           8
        .value_kind:     global_buffer
      - .actual_access:  write_only
        .address_space:  global
        .offset:         96
        .size:           8
        .value_kind:     global_buffer
    .group_segment_fixed_size: 0
    .kernarg_segment_align: 8
    .kernarg_segment_size: 104
    .language:       OpenCL C
    .language_version:
      - 2
      - 0
    .max_flat_workgroup_size: 64
    .name:           fft_rtc_fwd_len224_factors_7_2_2_2_2_2_wgs_64_tpt_16_halfLds_half_op_CI_CI_unitstride_sbrr_dirReg
    .private_segment_fixed_size: 0
    .sgpr_count:     29
    .sgpr_spill_count: 0
    .symbol:         fft_rtc_fwd_len224_factors_7_2_2_2_2_2_wgs_64_tpt_16_halfLds_half_op_CI_CI_unitstride_sbrr_dirReg.kd
    .uniform_work_group_size: 1
    .uses_dynamic_stack: false
    .vgpr_count:     91
    .vgpr_spill_count: 0
    .wavefront_size: 32
    .workgroup_processor_mode: 1
amdhsa.target:   amdgcn-amd-amdhsa--gfx1100
amdhsa.version:
  - 1
  - 2
...

	.end_amdgpu_metadata
